;; amdgpu-corpus repo=ROCm/rocFFT kind=compiled arch=gfx1100 opt=O3
	.text
	.amdgcn_target "amdgcn-amd-amdhsa--gfx1100"
	.amdhsa_code_object_version 6
	.protected	fft_rtc_back_len96_factors_3_4_8_wgs_192_tpt_8_dim3_sp_ip_CI_sbcc_twdbase8_3step_dirReg_intrinsicReadWrite ; -- Begin function fft_rtc_back_len96_factors_3_4_8_wgs_192_tpt_8_dim3_sp_ip_CI_sbcc_twdbase8_3step_dirReg_intrinsicReadWrite
	.globl	fft_rtc_back_len96_factors_3_4_8_wgs_192_tpt_8_dim3_sp_ip_CI_sbcc_twdbase8_3step_dirReg_intrinsicReadWrite
	.p2align	8
	.type	fft_rtc_back_len96_factors_3_4_8_wgs_192_tpt_8_dim3_sp_ip_CI_sbcc_twdbase8_3step_dirReg_intrinsicReadWrite,@function
fft_rtc_back_len96_factors_3_4_8_wgs_192_tpt_8_dim3_sp_ip_CI_sbcc_twdbase8_3step_dirReg_intrinsicReadWrite: ; @fft_rtc_back_len96_factors_3_4_8_wgs_192_tpt_8_dim3_sp_ip_CI_sbcc_twdbase8_3step_dirReg_intrinsicReadWrite
; %bb.0:
	s_load_b128 s[4:7], s[0:1], 0x10
	s_mov_b32 s10, s15
	s_waitcnt lgkmcnt(0)
	s_load_b64 s[2:3], s[4:5], 0x8
	s_waitcnt lgkmcnt(0)
	s_add_u32 s8, s2, -1
	s_addc_u32 s9, s3, -1
	s_add_u32 s11, 0, 0xaaaa0000
	s_addc_u32 s12, 0, 42
	s_mul_hi_u32 s14, s11, 0xffffffe8
	s_add_i32 s12, s12, 0xaaaaa80
	s_sub_i32 s14, s14, s11
	s_mul_i32 s16, s12, 0xffffffe8
	s_mul_i32 s13, s11, 0xffffffe8
	s_add_i32 s14, s14, s16
	s_mul_hi_u32 s15, s11, s13
	s_mul_i32 s18, s11, s14
	s_mul_hi_u32 s16, s11, s14
	s_mul_hi_u32 s17, s12, s13
	s_mul_i32 s13, s12, s13
	s_add_u32 s15, s15, s18
	s_addc_u32 s16, 0, s16
	s_mul_hi_u32 s19, s12, s14
	s_add_u32 s13, s15, s13
	s_mul_i32 s14, s12, s14
	s_addc_u32 s13, s16, s17
	s_addc_u32 s15, s19, 0
	s_add_u32 s13, s13, s14
	s_delay_alu instid0(SALU_CYCLE_1) | instskip(SKIP_3) | instid1(VALU_DEP_1)
	v_add_co_u32 v1, s11, s11, s13
	s_addc_u32 s13, 0, s15
	s_cmp_lg_u32 s11, 0
	s_addc_u32 s11, s12, s13
	v_readfirstlane_b32 s12, v1
	s_mul_i32 s14, s8, s11
	s_mul_hi_u32 s13, s8, s11
	s_mul_hi_u32 s15, s9, s11
	s_mul_i32 s11, s9, s11
	s_mul_hi_u32 s16, s8, s12
	s_mul_hi_u32 s17, s9, s12
	s_mul_i32 s12, s9, s12
	s_add_u32 s14, s16, s14
	s_addc_u32 s13, 0, s13
	s_add_u32 s12, s14, s12
	s_addc_u32 s12, s13, s17
	s_addc_u32 s13, s15, 0
	s_add_u32 s12, s12, s11
	s_addc_u32 s13, 0, s13
	s_mul_i32 s14, s12, 24
	s_add_u32 s11, s12, 1
	v_sub_co_u32 v1, s8, s8, s14
	s_mul_hi_u32 s14, s12, 24
	s_addc_u32 s15, s13, 0
	s_mul_i32 s16, s13, 24
	s_delay_alu instid0(VALU_DEP_1)
	v_sub_co_u32 v2, s17, v1, 24
	s_add_u32 s18, s12, 2
	s_addc_u32 s19, s13, 0
	s_add_i32 s14, s14, s16
	s_cmp_lg_u32 s8, 0
	v_readfirstlane_b32 s8, v2
	s_subb_u32 s9, s9, s14
	s_cmp_lg_u32 s17, 0
	s_mov_b64 s[16:17], 0
	s_subb_u32 s14, s9, 0
	s_cmp_gt_u32 s8, 23
	s_cselect_b32 s8, -1, 0
	s_cmp_eq_u32 s14, 0
	v_readfirstlane_b32 s14, v1
	s_cselect_b32 s8, s8, -1
	s_delay_alu instid0(SALU_CYCLE_1)
	s_cmp_lg_u32 s8, 0
	s_cselect_b32 s8, s18, s11
	s_cselect_b32 s15, s19, s15
	s_cmp_gt_u32 s14, 23
	s_cselect_b32 s11, -1, 0
	s_cmp_eq_u32 s9, 0
	s_cselect_b32 s9, s11, -1
	s_mov_b32 s11, 0
	s_cmp_lg_u32 s9, 0
	s_cselect_b32 s8, s8, s12
	s_cselect_b32 s9, s15, s13
	s_add_u32 s12, s8, 1
	s_addc_u32 s13, s9, 0
	s_delay_alu instid0(SALU_CYCLE_1) | instskip(NEXT) | instid1(VALU_DEP_1)
	v_cmp_lt_u64_e64 s8, s[10:11], s[12:13]
	s_and_b32 vcc_lo, exec_lo, s8
	s_cbranch_vccnz .LBB0_2
; %bb.1:
	v_cvt_f32_u32_e32 v1, s12
	s_sub_i32 s9, 0, s12
	s_mov_b32 s17, s11
	s_delay_alu instid0(VALU_DEP_1) | instskip(SKIP_2) | instid1(VALU_DEP_1)
	v_rcp_iflag_f32_e32 v1, v1
	s_waitcnt_depctr 0xfff
	v_mul_f32_e32 v1, 0x4f7ffffe, v1
	v_cvt_u32_f32_e32 v1, v1
	s_delay_alu instid0(VALU_DEP_1) | instskip(NEXT) | instid1(VALU_DEP_1)
	v_readfirstlane_b32 s8, v1
	s_mul_i32 s9, s9, s8
	s_delay_alu instid0(SALU_CYCLE_1) | instskip(NEXT) | instid1(SALU_CYCLE_1)
	s_mul_hi_u32 s9, s8, s9
	s_add_i32 s8, s8, s9
	s_delay_alu instid0(SALU_CYCLE_1) | instskip(NEXT) | instid1(SALU_CYCLE_1)
	s_mul_hi_u32 s8, s10, s8
	s_mul_i32 s9, s8, s12
	s_add_i32 s14, s8, 1
	s_sub_i32 s9, s10, s9
	s_delay_alu instid0(SALU_CYCLE_1)
	s_sub_i32 s15, s9, s12
	s_cmp_ge_u32 s9, s12
	s_cselect_b32 s8, s14, s8
	s_cselect_b32 s9, s15, s9
	s_add_i32 s14, s8, 1
	s_cmp_ge_u32 s9, s12
	s_cselect_b32 s16, s14, s8
.LBB0_2:
	s_load_b64 s[22:23], s[4:5], 0x10
	s_load_b64 s[14:15], s[6:7], 0x8
	s_mov_b64 s[18:19], s[16:17]
	s_waitcnt lgkmcnt(0)
	v_cmp_lt_u64_e64 s4, s[16:17], s[22:23]
	s_delay_alu instid0(VALU_DEP_1)
	s_and_b32 vcc_lo, exec_lo, s4
	s_cbranch_vccnz .LBB0_4
; %bb.3:
	v_cvt_f32_u32_e32 v1, s22
	s_sub_i32 s5, 0, s22
	s_delay_alu instid0(VALU_DEP_1) | instskip(SKIP_2) | instid1(VALU_DEP_1)
	v_rcp_iflag_f32_e32 v1, v1
	s_waitcnt_depctr 0xfff
	v_mul_f32_e32 v1, 0x4f7ffffe, v1
	v_cvt_u32_f32_e32 v1, v1
	s_delay_alu instid0(VALU_DEP_1) | instskip(NEXT) | instid1(VALU_DEP_1)
	v_readfirstlane_b32 s4, v1
	s_mul_i32 s5, s5, s4
	s_delay_alu instid0(SALU_CYCLE_1) | instskip(NEXT) | instid1(SALU_CYCLE_1)
	s_mul_hi_u32 s5, s4, s5
	s_add_i32 s4, s4, s5
	s_delay_alu instid0(SALU_CYCLE_1) | instskip(NEXT) | instid1(SALU_CYCLE_1)
	s_mul_hi_u32 s4, s16, s4
	s_mul_i32 s4, s4, s22
	s_delay_alu instid0(SALU_CYCLE_1) | instskip(NEXT) | instid1(SALU_CYCLE_1)
	s_sub_i32 s4, s16, s4
	s_sub_i32 s5, s4, s22
	s_cmp_ge_u32 s4, s22
	s_cselect_b32 s4, s5, s4
	s_delay_alu instid0(SALU_CYCLE_1)
	s_sub_i32 s5, s4, s22
	s_cmp_ge_u32 s4, s22
	s_cselect_b32 s18, s5, s4
.LBB0_4:
	s_load_b64 s[4:5], s[0:1], 0x50
	s_clause 0x1
	s_load_b64 s[8:9], s[6:7], 0x0
	s_load_b64 s[20:21], s[6:7], 0x10
	s_mul_i32 s17, s22, s13
	s_waitcnt lgkmcnt(0)
	s_mul_hi_u32 s9, s22, s12
	s_mul_i32 s24, s22, s12
	s_add_i32 s9, s9, s17
	s_mul_i32 s17, s23, s12
	s_mov_b64 s[22:23], 0
	s_add_i32 s25, s9, s17
	s_delay_alu instid0(SALU_CYCLE_1) | instskip(NEXT) | instid1(VALU_DEP_1)
	v_cmp_lt_u64_e64 s9, s[10:11], s[24:25]
	s_and_b32 vcc_lo, exec_lo, s9
	s_cbranch_vccnz .LBB0_6
; %bb.5:
	v_cvt_f32_u32_e32 v1, s24
	s_sub_i32 s11, 0, s24
	s_delay_alu instid0(VALU_DEP_1) | instskip(SKIP_2) | instid1(VALU_DEP_1)
	v_rcp_iflag_f32_e32 v1, v1
	s_waitcnt_depctr 0xfff
	v_mul_f32_e32 v1, 0x4f7ffffe, v1
	v_cvt_u32_f32_e32 v1, v1
	s_delay_alu instid0(VALU_DEP_1) | instskip(NEXT) | instid1(VALU_DEP_1)
	v_readfirstlane_b32 s9, v1
	s_mul_i32 s11, s11, s9
	s_delay_alu instid0(SALU_CYCLE_1) | instskip(NEXT) | instid1(SALU_CYCLE_1)
	s_mul_hi_u32 s11, s9, s11
	s_add_i32 s9, s9, s11
	s_delay_alu instid0(SALU_CYCLE_1) | instskip(NEXT) | instid1(SALU_CYCLE_1)
	s_mul_hi_u32 s9, s10, s9
	s_mul_i32 s11, s9, s24
	s_add_i32 s17, s9, 1
	s_sub_i32 s11, s10, s11
	s_delay_alu instid0(SALU_CYCLE_1)
	s_sub_i32 s19, s11, s24
	s_cmp_ge_u32 s11, s24
	s_cselect_b32 s9, s17, s9
	s_cselect_b32 s11, s19, s11
	s_add_i32 s17, s9, 1
	s_cmp_ge_u32 s11, s24
	s_cselect_b32 s22, s17, s9
.LBB0_6:
	v_mul_u32_u24_e32 v1, 0xaab, v0
	s_load_b64 s[6:7], s[6:7], 0x18
	s_waitcnt lgkmcnt(0)
	s_mul_i32 s7, s16, s13
	s_mul_hi_u32 s9, s16, s12
	s_mul_i32 s11, s16, s12
	v_lshrrev_b32_e32 v100, 16, v1
	s_add_i32 s9, s9, s7
	s_sub_u32 s7, s10, s11
	s_subb_u32 s9, 0, s9
	s_mul_i32 s11, s7, 24
	v_mul_lo_u16 v1, v100, 24
	s_mul_hi_u32 s7, s7, 24
	s_mul_i32 s9, s9, 24
	s_mul_i32 s12, s20, s18
	s_mul_i32 s10, s14, s11
	v_sub_nc_u16 v1, v0, v1
	s_add_i32 s7, s7, s9
	s_add_u32 s10, s12, s10
	v_mov_b32_e32 v8, 0
	s_delay_alu instid0(VALU_DEP_2) | instskip(SKIP_1) | instid1(SALU_CYCLE_1)
	v_and_b32_e32 v28, 0xffff, v1
	s_mul_i32 s6, s6, s22
	s_add_u32 s10, s6, s10
	s_add_u32 s6, s11, 24
	s_delay_alu instid0(VALU_DEP_1) | instskip(NEXT) | instid1(VALU_DEP_1)
	v_mad_u64_u32 v[19:20], null, s14, v28, 0
	v_mov_b32_e32 v1, v20
	v_add_co_u32 v17, s9, s11, v28
	s_delay_alu instid0(VALU_DEP_1) | instskip(SKIP_1) | instid1(VALU_DEP_3)
	v_add_co_ci_u32_e64 v18, null, s7, 0, s9
	s_addc_u32 s7, s7, 0
	v_mad_u64_u32 v[2:3], null, s15, v28, v[1:2]
	v_cmp_le_u64_e64 s9, s[6:7], s[2:3]
	s_delay_alu instid0(VALU_DEP_3) | instskip(SKIP_1) | instid1(VALU_DEP_3)
	v_cmp_gt_u64_e32 vcc_lo, s[2:3], v[17:18]
	v_dual_mov_b32 v2, 0 :: v_dual_mov_b32 v1, 0
	s_or_b32 s3, s9, vcc_lo
	s_delay_alu instid0(SALU_CYCLE_1)
	s_and_saveexec_b32 s6, s3
	s_cbranch_execz .LBB0_8
; %bb.7:
	v_mul_lo_u32 v1, s8, v100
	v_mov_b32_e32 v2, 0
	s_delay_alu instid0(VALU_DEP_2) | instskip(NEXT) | instid1(VALU_DEP_1)
	v_add3_u32 v1, s10, v19, v1
	v_lshlrev_b64 v[1:2], 3, v[1:2]
	s_delay_alu instid0(VALU_DEP_1) | instskip(NEXT) | instid1(VALU_DEP_1)
	v_add_co_u32 v1, s2, s4, v1
	v_add_co_ci_u32_e64 v2, s2, s5, v2, s2
	global_load_b64 v[1:2], v[1:2], off
.LBB0_8:
	s_or_b32 exec_lo, exec_lo, s6
	v_mov_b32_e32 v7, 0
	s_and_saveexec_b32 s6, s3
	s_cbranch_execz .LBB0_10
; %bb.9:
	v_or_b32_e32 v3, 32, v100
	v_mov_b32_e32 v4, 0
	s_delay_alu instid0(VALU_DEP_2) | instskip(NEXT) | instid1(VALU_DEP_1)
	v_mul_lo_u32 v3, s8, v3
	v_add3_u32 v3, s10, v19, v3
	s_delay_alu instid0(VALU_DEP_1) | instskip(NEXT) | instid1(VALU_DEP_1)
	v_lshlrev_b64 v[3:4], 3, v[3:4]
	v_add_co_u32 v3, s2, s4, v3
	s_delay_alu instid0(VALU_DEP_1)
	v_add_co_ci_u32_e64 v4, s2, s5, v4, s2
	global_load_b64 v[7:8], v[3:4], off
.LBB0_10:
	s_or_b32 exec_lo, exec_lo, s6
	v_dual_mov_b32 v4, 0 :: v_dual_mov_b32 v11, 0
	v_mov_b32_e32 v12, 0
	s_and_saveexec_b32 s6, s3
	s_cbranch_execz .LBB0_12
; %bb.11:
	v_or_b32_e32 v3, 64, v100
	v_mov_b32_e32 v6, 0
	s_delay_alu instid0(VALU_DEP_2) | instskip(NEXT) | instid1(VALU_DEP_1)
	v_mul_lo_u32 v3, s8, v3
	v_add3_u32 v5, s10, v19, v3
	s_delay_alu instid0(VALU_DEP_1) | instskip(NEXT) | instid1(VALU_DEP_1)
	v_lshlrev_b64 v[5:6], 3, v[5:6]
	v_add_co_u32 v5, s2, s4, v5
	s_delay_alu instid0(VALU_DEP_1)
	v_add_co_ci_u32_e64 v6, s2, s5, v6, s2
	global_load_b64 v[11:12], v[5:6], off
.LBB0_12:
	s_or_b32 exec_lo, exec_lo, s6
	v_dual_mov_b32 v3, 0 :: v_dual_add_nc_u32 v98, 8, v100
	s_and_saveexec_b32 s6, s3
	s_cbranch_execz .LBB0_14
; %bb.13:
	s_delay_alu instid0(VALU_DEP_1) | instskip(SKIP_1) | instid1(VALU_DEP_2)
	v_mul_lo_u32 v3, s8, v98
	v_mov_b32_e32 v4, 0
	v_add3_u32 v3, s10, v19, v3
	s_delay_alu instid0(VALU_DEP_1) | instskip(NEXT) | instid1(VALU_DEP_1)
	v_lshlrev_b64 v[3:4], 3, v[3:4]
	v_add_co_u32 v3, s2, s4, v3
	s_delay_alu instid0(VALU_DEP_1)
	v_add_co_ci_u32_e64 v4, s2, s5, v4, s2
	global_load_b64 v[3:4], v[3:4], off
.LBB0_14:
	s_or_b32 exec_lo, exec_lo, s6
	v_dual_mov_b32 v14, 0 :: v_dual_mov_b32 v15, 0
	v_mov_b32_e32 v16, 0
	s_and_saveexec_b32 s6, s3
	s_cbranch_execz .LBB0_16
; %bb.15:
	v_dual_mov_b32 v6, 0 :: v_dual_add_nc_u32 v5, 40, v100
	s_delay_alu instid0(VALU_DEP_1) | instskip(NEXT) | instid1(VALU_DEP_1)
	v_mul_lo_u32 v5, s8, v5
	v_add3_u32 v5, s10, v19, v5
	s_delay_alu instid0(VALU_DEP_1) | instskip(NEXT) | instid1(VALU_DEP_1)
	v_lshlrev_b64 v[5:6], 3, v[5:6]
	v_add_co_u32 v5, s2, s4, v5
	s_delay_alu instid0(VALU_DEP_1)
	v_add_co_ci_u32_e64 v6, s2, s5, v6, s2
	global_load_b64 v[15:16], v[5:6], off
.LBB0_16:
	s_or_b32 exec_lo, exec_lo, s6
	v_mov_b32_e32 v13, 0
	s_and_saveexec_b32 s6, s3
	s_cbranch_execz .LBB0_18
; %bb.17:
	v_dual_mov_b32 v6, 0 :: v_dual_add_nc_u32 v5, 0x48, v100
	s_delay_alu instid0(VALU_DEP_1) | instskip(NEXT) | instid1(VALU_DEP_1)
	v_mul_lo_u32 v5, s8, v5
	v_add3_u32 v5, s10, v19, v5
	s_delay_alu instid0(VALU_DEP_1) | instskip(NEXT) | instid1(VALU_DEP_1)
	v_lshlrev_b64 v[5:6], 3, v[5:6]
	v_add_co_u32 v5, s2, s4, v5
	s_delay_alu instid0(VALU_DEP_1)
	v_add_co_ci_u32_e64 v6, s2, s5, v6, s2
	global_load_b64 v[13:14], v[5:6], off
.LBB0_18:
	s_or_b32 exec_lo, exec_lo, s6
	v_or_b32_e32 v29, 16, v100
	v_dual_mov_b32 v21, 0 :: v_dual_mov_b32 v6, 0
	v_mov_b32_e32 v5, 0
	s_and_saveexec_b32 s6, s3
	s_cbranch_execz .LBB0_20
; %bb.19:
	v_mul_lo_u32 v5, s8, v29
	v_mov_b32_e32 v6, 0
	s_delay_alu instid0(VALU_DEP_2) | instskip(NEXT) | instid1(VALU_DEP_1)
	v_add3_u32 v5, s10, v19, v5
	v_lshlrev_b64 v[5:6], 3, v[5:6]
	s_delay_alu instid0(VALU_DEP_1) | instskip(NEXT) | instid1(VALU_DEP_1)
	v_add_co_u32 v5, s2, s4, v5
	v_add_co_ci_u32_e64 v6, s2, s5, v6, s2
	global_load_b64 v[5:6], v[5:6], off
.LBB0_20:
	s_or_b32 exec_lo, exec_lo, s6
	v_mov_b32_e32 v20, 0
	s_and_saveexec_b32 s6, s3
	s_cbranch_execz .LBB0_22
; %bb.21:
	v_or_b32_e32 v9, 48, v100
	v_mov_b32_e32 v10, 0
	s_delay_alu instid0(VALU_DEP_2) | instskip(NEXT) | instid1(VALU_DEP_1)
	v_mul_lo_u32 v9, s8, v9
	v_add3_u32 v9, s10, v19, v9
	s_delay_alu instid0(VALU_DEP_1) | instskip(NEXT) | instid1(VALU_DEP_1)
	v_lshlrev_b64 v[9:10], 3, v[9:10]
	v_add_co_u32 v9, s2, s4, v9
	s_delay_alu instid0(VALU_DEP_1)
	v_add_co_ci_u32_e64 v10, s2, s5, v10, s2
	global_load_b64 v[20:21], v[9:10], off
.LBB0_22:
	s_or_b32 exec_lo, exec_lo, s6
	v_dual_mov_b32 v10, 0 :: v_dual_mov_b32 v25, 0
	v_mov_b32_e32 v24, 0
	s_and_saveexec_b32 s6, s3
	s_cbranch_execz .LBB0_24
; %bb.23:
	v_or_b32_e32 v9, 0x50, v100
	v_mov_b32_e32 v23, 0
	s_delay_alu instid0(VALU_DEP_2) | instskip(NEXT) | instid1(VALU_DEP_1)
	v_mul_lo_u32 v9, s8, v9
	v_add3_u32 v22, s10, v19, v9
	s_delay_alu instid0(VALU_DEP_1) | instskip(NEXT) | instid1(VALU_DEP_1)
	v_lshlrev_b64 v[22:23], 3, v[22:23]
	v_add_co_u32 v22, s2, s4, v22
	s_delay_alu instid0(VALU_DEP_1)
	v_add_co_ci_u32_e64 v23, s2, s5, v23, s2
	global_load_b64 v[24:25], v[22:23], off
.LBB0_24:
	s_or_b32 exec_lo, exec_lo, s6
	v_dual_mov_b32 v9, 0 :: v_dual_add_nc_u32 v18, 24, v100
	s_and_saveexec_b32 s6, s3
	s_cbranch_execz .LBB0_26
; %bb.25:
	s_delay_alu instid0(VALU_DEP_1) | instskip(SKIP_1) | instid1(VALU_DEP_2)
	v_mul_lo_u32 v9, s8, v18
	v_mov_b32_e32 v10, 0
	v_add3_u32 v9, s10, v19, v9
	s_delay_alu instid0(VALU_DEP_1) | instskip(NEXT) | instid1(VALU_DEP_1)
	v_lshlrev_b64 v[9:10], 3, v[9:10]
	v_add_co_u32 v9, s2, s4, v9
	s_delay_alu instid0(VALU_DEP_1)
	v_add_co_ci_u32_e64 v10, s2, s5, v10, s2
	global_load_b64 v[9:10], v[9:10], off
.LBB0_26:
	s_or_b32 exec_lo, exec_lo, s6
	s_load_b64 s[6:7], s[0:1], 0x0
	v_dual_mov_b32 v23, 0 :: v_dual_mov_b32 v26, 0
	v_mov_b32_e32 v27, 0
	s_and_saveexec_b32 s11, s3
	s_cbranch_execz .LBB0_28
; %bb.27:
	v_dual_mov_b32 v27, 0 :: v_dual_add_nc_u32 v22, 56, v100
	s_delay_alu instid0(VALU_DEP_1) | instskip(NEXT) | instid1(VALU_DEP_1)
	v_mul_lo_u32 v22, s8, v22
	v_add3_u32 v26, s10, v19, v22
	s_delay_alu instid0(VALU_DEP_1) | instskip(NEXT) | instid1(VALU_DEP_1)
	v_lshlrev_b64 v[26:27], 3, v[26:27]
	v_add_co_u32 v26, s2, s4, v26
	s_delay_alu instid0(VALU_DEP_1)
	v_add_co_ci_u32_e64 v27, s2, s5, v27, s2
	global_load_b64 v[26:27], v[26:27], off
.LBB0_28:
	s_or_b32 exec_lo, exec_lo, s11
	v_mov_b32_e32 v22, 0
	s_and_saveexec_b32 s11, s3
	s_cbranch_execz .LBB0_30
; %bb.29:
	v_dual_mov_b32 v23, 0 :: v_dual_add_nc_u32 v22, 0x58, v100
	s_delay_alu instid0(VALU_DEP_1) | instskip(NEXT) | instid1(VALU_DEP_1)
	v_mul_lo_u32 v22, s8, v22
	v_add3_u32 v22, s10, v19, v22
	s_delay_alu instid0(VALU_DEP_1) | instskip(NEXT) | instid1(VALU_DEP_1)
	v_lshlrev_b64 v[22:23], 3, v[22:23]
	v_add_co_u32 v22, s2, s4, v22
	s_delay_alu instid0(VALU_DEP_1)
	v_add_co_ci_u32_e64 v23, s2, s5, v23, s2
	global_load_b64 v[22:23], v[22:23], off
.LBB0_30:
	s_or_b32 exec_lo, exec_lo, s11
	s_waitcnt vmcnt(0)
	v_dual_add_f32 v30, v7, v11 :: v_dual_sub_f32 v33, v8, v12
	v_dual_add_f32 v31, v1, v7 :: v_dual_add_f32 v32, v8, v12
	s_delay_alu instid0(VALU_DEP_2) | instskip(SKIP_2) | instid1(VALU_DEP_4)
	v_dual_fmac_f32 v1, -0.5, v30 :: v_dual_lshlrev_b32 v48, 3, v28
	v_add_f32_e32 v8, v2, v8
	v_add_f32_e32 v34, v15, v13
	;; [unrolled: 1-line block ×3, first 2 shown]
	v_dual_fmac_f32 v2, -0.5, v32 :: v_dual_sub_f32 v7, v7, v11
	s_delay_alu instid0(VALU_DEP_4) | instskip(NEXT) | instid1(VALU_DEP_4)
	v_dual_add_f32 v31, v8, v12 :: v_dual_add_f32 v8, v3, v15
	v_fmac_f32_e32 v3, -0.5, v34
	v_sub_f32_e32 v12, v16, v14
	v_fmamk_f32 v32, v33, 0xbf5db3d7, v1
	v_fmac_f32_e32 v1, 0x3f5db3d7, v33
	v_fmamk_f32 v33, v7, 0x3f5db3d7, v2
	s_delay_alu instid0(VALU_DEP_4) | instskip(SKIP_4) | instid1(VALU_DEP_3)
	v_dual_fmac_f32 v2, 0xbf5db3d7, v7 :: v_dual_fmamk_f32 v11, v12, 0xbf5db3d7, v3
	v_add_f32_e32 v7, v8, v13
	v_dual_add_f32 v8, v16, v14 :: v_dual_fmac_f32 v3, 0x3f5db3d7, v12
	v_dual_add_f32 v16, v4, v16 :: v_dual_sub_f32 v13, v15, v13
	v_add_f32_e32 v12, v20, v24
	v_fmac_f32_e32 v4, -0.5, v8
	v_mul_lo_u16 v28, 0x56, v29
	s_delay_alu instid0(VALU_DEP_4)
	v_add_f32_e32 v8, v16, v14
	v_add_f32_e32 v14, v5, v20
	v_dual_fmac_f32 v5, -0.5, v12 :: v_dual_sub_f32 v16, v21, v25
	v_sub_f32_e32 v20, v20, v24
	s_movk_i32 s11, 0x1000
	s_mov_b32 s12, exec_lo
                                        ; implicit-def: $vgpr65
	s_delay_alu instid0(VALU_DEP_2)
	v_fmamk_f32 v15, v16, 0xbf5db3d7, v5
	v_fmamk_f32 v12, v13, 0x3f5db3d7, v4
	v_dual_fmac_f32 v4, 0xbf5db3d7, v13 :: v_dual_add_f32 v13, v14, v24
	v_dual_fmac_f32 v5, 0x3f5db3d7, v16 :: v_dual_sub_f32 v24, v27, v23
	v_add_f32_e32 v16, v26, v22
	v_add_f32_e32 v14, v21, v25
	s_delay_alu instid0(VALU_DEP_1) | instskip(NEXT) | instid1(VALU_DEP_1)
	v_dual_add_f32 v21, v6, v21 :: v_dual_fmac_f32 v6, -0.5, v14
	v_add_f32_e32 v14, v21, v25
	v_add_f32_e32 v21, v9, v26
	;; [unrolled: 1-line block ×3, first 2 shown]
	s_delay_alu instid0(VALU_DEP_4) | instskip(SKIP_1) | instid1(VALU_DEP_4)
	v_dual_fmac_f32 v9, -0.5, v16 :: v_dual_fmamk_f32 v16, v20, 0x3f5db3d7, v6
	v_fmac_f32_e32 v6, 0xbf5db3d7, v20
	v_dual_add_f32 v20, v21, v22 :: v_dual_add_f32 v21, v10, v27
	s_delay_alu instid0(VALU_DEP_4) | instskip(SKIP_4) | instid1(VALU_DEP_4)
	v_fmac_f32_e32 v10, -0.5, v25
	v_mul_u32_u24_e32 v25, 0x240, v100
	v_sub_f32_e32 v22, v26, v22
	v_mul_lo_u16 v26, 0x56, v100
	v_dual_add_f32 v21, v21, v23 :: v_dual_fmamk_f32 v34, v24, 0xbf5db3d7, v9
	v_add3_u32 v23, 0, v25, v48
	v_fmac_f32_e32 v9, 0x3f5db3d7, v24
	s_delay_alu instid0(VALU_DEP_4)
	v_lshrrev_b16 v25, 8, v26
	v_mul_lo_u16 v26, 0x56, v98
	v_fmamk_f32 v24, v22, 0x3f5db3d7, v10
	v_fmac_f32_e32 v10, 0xbf5db3d7, v22
	v_add_nc_u32_e32 v22, 0x1000, v23
	v_mul_lo_u16 v27, v25, 3
	v_lshrrev_b16 v26, 8, v26
	ds_store_2addr_b64 v23, v[30:31], v[32:33] offset1:24
	v_add_nc_u32_e32 v30, 0x2000, v23
	ds_store_2addr_b64 v22, v[7:8], v[11:12] offset0:64 offset1:88
	v_sub_nc_u16 v7, v100, v27
	v_mul_lo_u16 v8, v26, 3
	v_lshrrev_b16 v22, 8, v28
	v_add_nc_u32_e32 v11, 0x3400, v23
	ds_store_2addr_b64 v30, v[13:14], v[15:16] offset0:128 offset1:152
	v_and_b32_e32 v46, 0xff, v7
	v_sub_nc_u16 v7, v98, v8
	v_mul_lo_u16 v8, v22, 3
	s_delay_alu instid0(VALU_DEP_2)
	v_and_b32_e32 v47, 0xff, v7
	ds_store_b64 v23, v[1:2] offset:384
	ds_store_b64 v23, v[3:4] offset:4992
	;; [unrolled: 1-line block ×4, first 2 shown]
	ds_store_2addr_b32 v11, v34, v24 offset0:176 offset1:177
	v_sub_nc_u16 v2, v29, v8
	v_mul_u32_u24_e32 v1, 3, v46
	ds_store_2addr_b32 v11, v9, v10 offset0:224 offset1:225
	v_mul_u32_u24_e32 v7, 3, v47
	s_waitcnt lgkmcnt(0)
	v_and_b32_e32 v49, 0xff, v2
	v_lshlrev_b32_e32 v1, 3, v1
	s_barrier
	v_lshlrev_b32_e32 v2, 3, v7
	buffer_gl0_inv
	v_mul_u32_u24_e32 v11, 3, v49
	s_clause 0x2
	global_load_b128 v[3:6], v1, s[6:7]
	global_load_b64 v[15:16], v1, s[6:7] offset:16
	global_load_b128 v[7:10], v2, s[6:7]
	v_and_b32_e32 v43, 0xffff, v26
	v_lshlrev_b32_e32 v1, 3, v11
	s_clause 0x2
	global_load_b64 v[36:37], v2, s[6:7] offset:16
	global_load_b128 v[11:14], v1, s[6:7]
	global_load_b64 v[38:39], v1, s[6:7] offset:16
	v_mad_i32_i24 v1, 0xfffffe80, v100, v23
	v_add_nc_u32_e32 v2, 0x3600, v23
	v_and_b32_e32 v42, 0xffff, v25
	v_and_b32_e32 v44, 0xffff, v22
	ds_load_2addr_stride64_b64 v[20:23], v1 offset1:12
	ds_load_2addr_stride64_b64 v[24:27], v1 offset0:15 offset1:18
	ds_load_2addr_stride64_b64 v[28:31], v1 offset0:27 offset1:30
	;; [unrolled: 1-line block ×3, first 2 shown]
	ds_load_b64 v[40:41], v1 offset:16896
	v_add_nc_u32_e32 v53, 0x100, v1
	s_waitcnt vmcnt(4) lgkmcnt(2)
	v_dual_mul_f32 v57, v6, v27 :: v_dual_mul_f32 v58, v16, v29
	v_mul_u32_u24_e32 v51, 12, v43
	s_waitcnt vmcnt(3)
	v_dual_mul_f32 v59, v8, v23 :: v_dual_mul_f32 v6, v6, v26
	s_delay_alu instid0(VALU_DEP_3)
	v_fmac_f32_e32 v57, v5, v26
	s_waitcnt vmcnt(2)
	v_mul_f32_e32 v61, v31, v37
	s_waitcnt vmcnt(0) lgkmcnt(0)
	v_dual_mul_f32 v63, v35, v14 :: v_dual_mul_f32 v64, v41, v39
	v_mul_f32_e32 v39, v40, v39
	v_mul_u32_u24_e32 v50, 12, v42
	v_fmac_f32_e32 v61, v30, v36
	v_mad_i32_i24 v18, 0xfffffe80, v18, v2
	v_fmac_f32_e32 v63, v34, v13
	v_mul_u32_u24_e32 v52, 12, v44
	v_or_b32_e32 v50, v50, v46
	v_or_b32_e32 v51, v51, v47
	ds_load_b64 v[42:43], v18
	v_mul_f32_e32 v8, v8, v22
	v_or_b32_e32 v49, v52, v49
	v_mul_u32_u24_e32 v50, 0xc0, v50
	v_mul_u32_u24_e32 v51, 0xc0, v51
	v_mul_f32_e32 v37, v30, v37
	v_fmac_f32_e32 v59, v7, v22
	v_mul_u32_u24_e32 v49, 0xc0, v49
	v_add3_u32 v50, 0, v50, v48
	v_add3_u32 v51, 0, v51, v48
	v_mul_f32_e32 v16, v16, v28
	v_mul_f32_e32 v14, v34, v14
	v_add3_u32 v48, 0, v49, v48
	s_waitcnt lgkmcnt(0)
	v_dual_fmac_f32 v58, v15, v28 :: v_dual_mul_f32 v49, v4, v43
	v_mul_f32_e32 v4, v4, v42
	s_delay_alu instid0(VALU_DEP_2) | instskip(NEXT) | instid1(VALU_DEP_2)
	v_fmac_f32_e32 v49, v3, v42
	v_fma_f32 v3, v3, v43, -v4
	v_fma_f32 v4, v5, v27, -v6
	;; [unrolled: 1-line block ×5, first 2 shown]
	s_delay_alu instid0(VALU_DEP_3) | instskip(SKIP_1) | instid1(VALU_DEP_3)
	v_dual_sub_f32 v5, v3, v5 :: v_dual_add_nc_u32 v2, 0xfffff400, v18
	v_mul_f32_e32 v60, v33, v10
	v_sub_f32_e32 v8, v6, v8
	v_mul_f32_e32 v10, v32, v10
	s_delay_alu instid0(VALU_DEP_4) | instskip(NEXT) | instid1(VALU_DEP_4)
	v_fma_f32 v26, v3, 2.0, -v5
	v_fmac_f32_e32 v60, v32, v9
	s_delay_alu instid0(VALU_DEP_4) | instskip(NEXT) | instid1(VALU_DEP_4)
	v_fma_f32 v30, v6, 2.0, -v8
	v_fma_f32 v7, v33, v9, -v10
	v_fma_f32 v10, v35, v13, -v14
	v_sub_f32_e32 v13, v21, v4
	ds_load_b32 v54, v2
	ds_load_b64 v[44:45], v2
	ds_load_b32 v55, v2 offset:4
	ds_load_b32 v56, v2 offset:1536
	;; [unrolled: 1-line block ×3, first 2 shown]
	ds_load_b64 v[46:47], v2 offset:1536
	v_sub_f32_e32 v4, v49, v58
	s_waitcnt lgkmcnt(0)
	v_fma_f32 v21, v21, 2.0, -v13
	s_barrier
	buffer_gl0_inv
	v_fma_f32 v23, v49, 2.0, -v4
	v_sub_f32_e32 v4, v13, v4
                                        ; implicit-def: $vgpr49
	v_dual_sub_f32 v14, v44, v60 :: v_dual_sub_f32 v15, v45, v7
	v_sub_f32_e32 v7, v59, v61
	v_sub_f32_e32 v22, v47, v10
	v_mul_f32_e32 v62, v25, v12
	s_delay_alu instid0(VALU_DEP_4)
	v_fma_f32 v27, v54, 2.0, -v14
	v_sub_f32_e32 v16, v46, v63
	v_fma_f32 v29, v59, 2.0, -v7
	v_mul_f32_e32 v12, v24, v12
	v_fmac_f32_e32 v62, v24, v11
	v_fma_f32 v34, v52, 2.0, -v22
	v_fma_f32 v28, v55, 2.0, -v15
	;; [unrolled: 1-line block ×3, first 2 shown]
	v_fma_f32 v9, v25, v11, -v12
	v_fma_f32 v11, v41, v38, -v39
	v_sub_f32_e32 v12, v20, v57
	v_sub_f32_e32 v6, v15, v7
                                        ; implicit-def: $vgpr61
                                        ; implicit-def: $vgpr57
	s_delay_alu instid0(VALU_DEP_3) | instskip(NEXT) | instid1(VALU_DEP_3)
	v_sub_f32_e32 v11, v9, v11
	v_fma_f32 v20, v20, 2.0, -v12
	v_add_f32_e32 v3, v12, v5
	v_dual_add_f32 v5, v14, v8 :: v_dual_sub_f32 v8, v21, v26
	s_delay_alu instid0(VALU_DEP_4) | instskip(SKIP_3) | instid1(VALU_DEP_4)
	v_fma_f32 v33, v9, 2.0, -v11
	v_dual_add_f32 v24, v16, v11 :: v_dual_sub_f32 v11, v27, v29
	v_sub_f32_e32 v7, v20, v23
	v_fma_f32 v9, v12, 2.0, -v3
	v_dual_sub_f32 v33, v34, v33 :: v_dual_fmac_f32 v64, v40, v38
	v_sub_f32_e32 v12, v28, v30
	v_fma_f32 v38, v16, 2.0, -v24
	v_fma_f32 v16, v21, 2.0, -v8
	s_delay_alu instid0(VALU_DEP_4) | instskip(SKIP_2) | instid1(VALU_DEP_2)
	v_fma_f32 v21, v34, 2.0, -v33
	v_sub_f32_e32 v10, v62, v64
	v_fma_f32 v23, v28, 2.0, -v12
	v_fma_f32 v32, v62, 2.0, -v10
	v_sub_f32_e32 v25, v22, v10
	v_fma_f32 v10, v13, 2.0, -v4
	v_fma_f32 v13, v14, 2.0, -v5
	;; [unrolled: 1-line block ×3, first 2 shown]
	v_sub_f32_e32 v32, v31, v32
	v_fma_f32 v15, v20, 2.0, -v7
	v_fma_f32 v39, v22, 2.0, -v25
	;; [unrolled: 1-line block ×3, first 2 shown]
	s_delay_alu instid0(VALU_DEP_4)
	v_fma_f32 v20, v31, 2.0, -v32
	ds_store_2addr_b64 v50, v[7:8], v[3:4] offset0:144 offset1:216
	ds_store_2addr_b64 v50, v[15:16], v[9:10] offset1:72
	ds_store_2addr_b64 v51, v[22:23], v[13:14] offset1:72
	ds_store_2addr_b64 v51, v[11:12], v[5:6] offset0:144 offset1:216
	ds_store_2addr_b64 v48, v[20:21], v[38:39] offset1:72
	ds_store_2addr_b64 v48, v[32:33], v[24:25] offset0:144 offset1:216
	s_waitcnt lgkmcnt(0)
	s_barrier
	buffer_gl0_inv
	ds_load_2addr_stride64_b64 v[13:16], v53 offset0:4 offset1:13
	ds_load_b64 v[86:87], v1
	ds_load_b64 v[88:89], v1 offset:9216
	ds_load_b64 v[94:95], v1 offset:11520
	ds_load_b64 v[90:91], v1 offset:13824
	ds_load_b64 v[92:93], v18
	ds_load_b64 v[96:97], v1 offset:16128
	v_cmpx_gt_u32_e32 0x60, v0
	s_cbranch_execz .LBB0_32
; %bb.31:
	ds_load_2addr_b32 v[20:21], v2 offset1:1
	ds_load_b64 v[38:39], v1 offset:3840
	ds_load_b64 v[32:33], v1 offset:6144
	;; [unrolled: 1-line block ×7, first 2 shown]
.LBB0_32:
	s_or_b32 exec_lo, exec_lo, s12
	v_mul_lo_u16 v1, v98, 22
	s_load_b64 s[0:1], s[0:1], 0x8
	s_delay_alu instid0(VALU_DEP_1) | instskip(NEXT) | instid1(VALU_DEP_1)
	v_lshrrev_b16 v99, 8, v1
	v_mul_lo_u16 v1, v99, 12
	s_delay_alu instid0(VALU_DEP_1) | instskip(NEXT) | instid1(VALU_DEP_1)
	v_sub_nc_u16 v1, v98, v1
	v_and_b32_e32 v18, 0xff, v1
	s_delay_alu instid0(VALU_DEP_1)
	v_add_nc_u32_e32 v3, 12, v18
	v_mul_lo_u32 v2, v17, v18
	v_add_nc_u32_e32 v4, 24, v18
	v_add_nc_u32_e32 v5, 36, v18
	v_mul_u32_u24_e32 v1, 7, v18
	v_mul_lo_u32 v23, v17, v3
	v_or_b32_e32 v22, 48, v18
	v_mul_lo_u32 v26, v17, v4
	v_mul_lo_u32 v27, v17, v5
	v_and_b32_e32 v28, 0xff, v2
	v_lshrrev_b32_e32 v29, 5, v2
	v_lshrrev_b32_e32 v30, 13, v2
	v_lshlrev_b32_e32 v9, 3, v1
	v_and_b32_e32 v31, 0xff, v23
	v_lshrrev_b32_e32 v34, 5, v23
	v_lshrrev_b32_e32 v23, 13, v23
	v_lshlrev_b32_e32 v28, 3, v28
	v_and_b32_e32 v35, 0xff, v26
	v_lshrrev_b32_e32 v36, 5, v26
	v_and_b32_e32 v29, 0x7f8, v29
	v_lshrrev_b32_e32 v26, 13, v26
	v_and_or_b32 v30, 0x7f8, v30, s11
	v_and_b32_e32 v37, 0xff, v27
	v_lshrrev_b32_e32 v40, 5, v27
	v_lshlrev_b32_e32 v31, 3, v31
	v_lshrrev_b32_e32 v27, 13, v27
	v_and_b32_e32 v34, 0x7f8, v34
	v_and_or_b32 v23, 0x7f8, v23, s11
	s_clause 0x3
	global_load_b64 v[84:85], v9, s[6:7] offset:120
	global_load_b128 v[1:4], v9, s[6:7] offset:104
	global_load_b128 v[5:8], v9, s[6:7] offset:88
	;; [unrolled: 1-line block ×3, first 2 shown]
	v_lshlrev_b32_e32 v35, 3, v35
	v_and_b32_e32 v36, 0x7f8, v36
	s_waitcnt lgkmcnt(0)
	s_clause 0x7
	global_load_b64 v[80:81], v28, s[0:1]
	global_load_b64 v[82:83], v29, s[0:1] offset:2048
	global_load_b64 v[78:79], v30, s[0:1]
	global_load_b64 v[74:75], v31, s[0:1]
	global_load_b64 v[76:77], v34, s[0:1] offset:2048
	global_load_b64 v[70:71], v23, s[0:1]
	global_load_b64 v[44:45], v35, s[0:1]
	global_load_b64 v[46:47], v36, s[0:1] offset:2048
	v_add_nc_u32_e32 v23, 60, v18
	v_and_or_b32 v26, 0x7f8, v26, s11
	v_lshlrev_b32_e32 v28, 3, v37
	v_mul_lo_u32 v22, v17, v22
	v_and_b32_e32 v29, 0x7f8, v40
	v_and_or_b32 v27, 0x7f8, v27, s11
	v_mul_lo_u32 v23, v17, v23
	s_clause 0x3
	global_load_b64 v[52:53], v26, s[0:1]
	global_load_b64 v[66:67], v28, s[0:1]
	global_load_b64 v[68:69], v29, s[0:1] offset:2048
	global_load_b64 v[42:43], v27, s[0:1]
	v_add_nc_u32_e32 v26, 0x48, v18
	v_add_nc_u32_e32 v18, 0x54, v18
	v_and_b32_e32 v27, 0xff, v22
	v_lshrrev_b32_e32 v28, 5, v22
	s_delay_alu instid0(VALU_DEP_4)
	v_mul_lo_u32 v26, v17, v26
	v_lshrrev_b32_e32 v22, 13, v22
	v_and_b32_e32 v29, 0xff, v23
	v_mul_lo_u32 v18, v17, v18
	v_lshlrev_b32_e32 v27, 3, v27
	v_and_b32_e32 v28, 0x7f8, v28
	v_lshrrev_b32_e32 v30, 5, v23
	v_and_or_b32 v22, 0x7f8, v22, s11
	v_lshlrev_b32_e32 v29, 3, v29
	v_lshrrev_b32_e32 v23, 13, v23
	v_and_b32_e32 v31, 0xff, v26
	s_clause 0x3
	global_load_b64 v[54:55], v27, s[0:1]
	global_load_b64 v[58:59], v28, s[0:1] offset:2048
	global_load_b64 v[40:41], v22, s[0:1]
	global_load_b64 v[50:51], v29, s[0:1]
	v_lshrrev_b32_e32 v28, 5, v26
	v_and_b32_e32 v22, 0x7f8, v30
	v_lshrrev_b32_e32 v26, 13, v26
	v_and_b32_e32 v29, 0xff, v18
	v_lshrrev_b32_e32 v30, 5, v18
	v_lshrrev_b32_e32 v18, 13, v18
	v_and_or_b32 v23, 0x7f8, v23, s11
	v_lshlrev_b32_e32 v27, 3, v31
	v_and_b32_e32 v28, 0x7f8, v28
	v_and_or_b32 v26, 0x7f8, v26, s11
	v_lshlrev_b32_e32 v29, 3, v29
	v_and_b32_e32 v30, 0x7f8, v30
	v_and_or_b32 v18, 0x7f8, v18, s11
	s_clause 0x7
	global_load_b64 v[72:73], v22, s[0:1] offset:2048
	global_load_b64 v[62:63], v23, s[0:1]
	global_load_b64 v[34:35], v27, s[0:1]
	global_load_b64 v[36:37], v28, s[0:1] offset:2048
	global_load_b64 v[26:27], v26, s[0:1]
	global_load_b64 v[28:29], v29, s[0:1]
	global_load_b64 v[30:31], v30, s[0:1] offset:2048
	global_load_b64 v[22:23], v18, s[0:1]
	v_add_nc_u32_e32 v18, s10, v19
	s_and_saveexec_b32 s2, s3
	s_cbranch_execz .LBB0_34
; %bb.33:
	v_mul_lo_u16 v19, v100, 22
	s_delay_alu instid0(VALU_DEP_1) | instskip(NEXT) | instid1(VALU_DEP_1)
	v_lshrrev_b16 v19, 8, v19
	v_mul_lo_u16 v19, v19, 12
	s_delay_alu instid0(VALU_DEP_1) | instskip(NEXT) | instid1(VALU_DEP_1)
	v_sub_nc_u16 v19, v100, v19
	v_and_b32_e32 v19, 0xff, v19
	s_delay_alu instid0(VALU_DEP_1) | instskip(NEXT) | instid1(VALU_DEP_1)
	v_mul_u32_u24_e32 v100, 7, v19
	v_lshlrev_b32_e32 v108, 3, v100
	s_clause 0x3
	global_load_b128 v[100:103], v108, s[6:7] offset:88
	global_load_b128 v[104:107], v108, s[6:7] offset:72
	global_load_b64 v[112:113], v108, s[6:7] offset:120
	global_load_b128 v[108:111], v108, s[6:7] offset:104
	s_waitcnt vmcnt(3)
	v_mul_f32_e32 v181, v101, v16
	s_waitcnt vmcnt(2)
	v_mul_f32_e32 v179, v105, v13
	v_mul_f32_e32 v105, v105, v14
	s_waitcnt vmcnt(0)
	v_mul_f32_e32 v180, v109, v94
	v_mad_u64_u32 v[162:163], null, s8, v19, v[18:19]
	v_dual_mov_b32 v163, 0 :: v_dual_add_nc_u32 v178, 0x54, v19
	v_add_nc_u32_e32 v174, 60, v19
	v_or_b32_e32 v172, 48, v19
	v_add_nc_u32_e32 v166, 12, v19
	v_add_nc_u32_e32 v176, 0x48, v19
	;; [unrolled: 1-line block ×3, first 2 shown]
	v_mul_lo_u32 v148, v17, v174
	v_add_nc_u32_e32 v168, 24, v19
	v_mul_lo_u32 v150, v17, v172
	v_mad_u64_u32 v[164:165], null, s8, v166, v[18:19]
	v_mul_lo_u32 v152, v17, v19
	v_mul_lo_u32 v146, v17, v178
	;; [unrolled: 1-line block ×3, first 2 shown]
	v_mov_b32_e32 v165, v163
	v_mul_lo_u32 v147, v17, v176
	v_and_b32_e32 v120, 0xff, v148
	v_mul_lo_u32 v153, v17, v168
	v_mul_lo_u32 v17, v17, v166
	v_and_b32_e32 v122, 0xff, v150
	v_mad_u64_u32 v[166:167], null, s8, v168, v[18:19]
	v_and_b32_e32 v114, 0xff, v152
	v_and_b32_e32 v116, 0xff, v146
	;; [unrolled: 1-line block ×4, first 2 shown]
	v_lshlrev_b32_e32 v131, 3, v120
	v_mad_u64_u32 v[168:169], null, s8, v170, v[18:19]
	v_mad_u64_u32 v[170:171], null, s8, v172, v[18:19]
	v_mov_b32_e32 v167, v163
	v_mad_u64_u32 v[172:173], null, s8, v174, v[18:19]
	v_mad_u64_u32 v[174:175], null, s8, v176, v[18:19]
	;; [unrolled: 1-line block ×3, first 2 shown]
	v_mul_f32_e32 v178, v111, v91
	v_mul_f32_e32 v19, v107, v93
	v_lshrrev_b32_e32 v117, 5, v146
	v_lshrrev_b32_e32 v119, 5, v147
	;; [unrolled: 1-line block ×6, first 2 shown]
	v_dual_mul_f32 v109, v109, v95 :: v_dual_and_b32 v126, 0xff, v153
	v_lshrrev_b32_e32 v127, 5, v153
	v_dual_mul_f32 v101, v101, v15 :: v_dual_and_b32 v128, 0xff, v17
	v_lshrrev_b32_e32 v129, 5, v17
	v_dual_mul_f32 v182, v113, v97 :: v_dual_lshlrev_b32 v133, 3, v122
	v_dual_fmac_f32 v19, v106, v92 :: v_dual_lshlrev_b32 v118, 3, v118
	v_dual_fmac_f32 v178, v110, v90 :: v_dual_lshlrev_b32 v135, 3, v124
	v_lshrrev_b32_e32 v146, 13, v146
	v_lshrrev_b32_e32 v154, 13, v147
	;; [unrolled: 1-line block ×3, first 2 shown]
	v_dual_mov_b32 v177, v163 :: v_dual_lshlrev_b32 v142, 3, v114
	v_mul_f32_e32 v113, v113, v96
	v_dual_mul_f32 v111, v111, v90 :: v_dual_lshlrev_b32 v114, 3, v116
	v_dual_mul_f32 v107, v107, v92 :: v_dual_and_b32 v116, 0x7f8, v117
	v_lshrrev_b32_e32 v148, 13, v148
	v_dual_fmac_f32 v105, v104, v13 :: v_dual_and_b32 v130, 0x7f8, v119
	v_and_b32_e32 v144, 0x7f8, v115
	v_dual_fmac_f32 v181, v100, v15 :: v_dual_and_b32 v132, 0x7f8, v121
	v_dual_fmac_f32 v109, v108, v94 :: v_dual_and_b32 v134, 0x7f8, v123
	v_and_b32_e32 v136, 0x7f8, v125
	v_dual_fmac_f32 v182, v112, v96 :: v_dual_lshlrev_b32 v137, 3, v126
	v_and_b32_e32 v138, 0x7f8, v127
	v_dual_sub_f32 v90, v19, v178 :: v_dual_lshlrev_b32 v139, 3, v128
	v_and_b32_e32 v140, 0x7f8, v129
	s_clause 0xf
	global_load_b64 v[114:115], v114, s[0:1]
	global_load_b64 v[116:117], v116, s[0:1] offset:2048
	global_load_b64 v[118:119], v118, s[0:1]
	global_load_b64 v[120:121], v130, s[0:1] offset:2048
	global_load_b64 v[122:123], v131, s[0:1]
	global_load_b64 v[124:125], v132, s[0:1] offset:2048
	global_load_b64 v[126:127], v133, s[0:1]
	global_load_b64 v[128:129], v134, s[0:1] offset:2048
	global_load_b64 v[130:131], v135, s[0:1]
	global_load_b64 v[132:133], v136, s[0:1] offset:2048
	global_load_b64 v[134:135], v137, s[0:1]
	global_load_b64 v[136:137], v138, s[0:1] offset:2048
	global_load_b64 v[138:139], v139, s[0:1]
	global_load_b64 v[140:141], v140, s[0:1] offset:2048
	global_load_b64 v[142:143], v142, s[0:1]
	global_load_b64 v[144:145], v144, s[0:1] offset:2048
	v_and_or_b32 v146, 0x7f8, v146, s11
	v_and_or_b32 v154, 0x7f8, v154, s11
	v_lshrrev_b32_e32 v155, 13, v151
	v_lshrrev_b32_e32 v153, 13, v153
	v_and_or_b32 v156, 0x7f8, v150, s11
	v_and_or_b32 v148, 0x7f8, v148, s11
	v_lshrrev_b32_e32 v17, 13, v17
	v_lshrrev_b32_e32 v157, 13, v152
	s_clause 0x2
	global_load_b64 v[146:147], v146, s[0:1]
	global_load_b64 v[148:149], v148, s[0:1]
	;; [unrolled: 1-line block ×3, first 2 shown]
	v_and_or_b32 v158, 0x7f8, v153, s11
	global_load_b64 v[152:153], v156, s[0:1]
	v_and_or_b32 v154, 0x7f8, v155, s11
	v_and_or_b32 v17, 0x7f8, v17, s11
	v_and_or_b32 v160, 0x7f8, v157, s11
	v_fma_f32 v14, v104, v14, -v179
	v_fma_f32 v13, v100, v16, -v101
	s_clause 0x3
	global_load_b64 v[154:155], v154, s[0:1]
	global_load_b64 v[156:157], v158, s[0:1]
	;; [unrolled: 1-line block ×4, first 2 shown]
	v_mul_f32_e32 v17, v103, v88
	v_mul_f32_e32 v103, v103, v89
	v_fma_f32 v15, v112, v97, -v113
	v_fma_f32 v16, v106, v93, -v107
	v_fma_f32 v19, v19, 2.0, -v90
	v_fma_f32 v17, v102, v89, -v17
	v_fma_f32 v89, v108, v95, -v180
	v_fmac_f32_e32 v103, v102, v88
	v_fma_f32 v88, v110, v91, -v111
	v_sub_f32_e32 v91, v181, v182
	v_sub_f32_e32 v17, v87, v17
	;; [unrolled: 1-line block ×3, first 2 shown]
	v_dual_sub_f32 v92, v105, v109 :: v_dual_sub_f32 v93, v86, v103
	v_dual_sub_f32 v15, v13, v15 :: v_dual_sub_f32 v88, v16, v88
	s_delay_alu instid0(VALU_DEP_4) | instskip(NEXT) | instid1(VALU_DEP_4)
	v_fma_f32 v87, v87, 2.0, -v17
	v_fma_f32 v14, v14, 2.0, -v89
	s_delay_alu instid0(VALU_DEP_4)
	v_fma_f32 v86, v86, 2.0, -v93
	v_mov_b32_e32 v169, v163
	v_fma_f32 v16, v16, 2.0, -v88
	v_mov_b32_e32 v171, v163
	v_mov_b32_e32 v173, v163
	;; [unrolled: 1-line block ×3, first 2 shown]
	v_lshlrev_b64 v[162:163], 3, v[162:163]
	v_lshlrev_b64 v[164:165], 3, v[164:165]
	;; [unrolled: 1-line block ×6, first 2 shown]
	v_add_co_u32 v162, s0, s4, v162
	s_delay_alu instid0(VALU_DEP_1) | instskip(SKIP_1) | instid1(VALU_DEP_1)
	v_add_co_ci_u32_e64 v163, s0, s5, v163, s0
	v_add_co_u32 v164, s0, s4, v164
	v_add_co_ci_u32_e64 v165, s0, s5, v165, s0
	v_add_co_u32 v166, s0, s4, v166
	s_delay_alu instid0(VALU_DEP_1) | instskip(SKIP_1) | instid1(VALU_DEP_1)
	v_add_co_ci_u32_e64 v167, s0, s5, v167, s0
	v_add_co_u32 v168, s0, s4, v168
	v_add_co_ci_u32_e64 v169, s0, s5, v169, s0
	v_lshlrev_b64 v[174:175], 3, v[174:175]
	v_add_co_u32 v170, s0, s4, v170
	s_delay_alu instid0(VALU_DEP_1) | instskip(SKIP_2) | instid1(VALU_DEP_1)
	v_add_co_ci_u32_e64 v171, s0, s5, v171, s0
	v_lshlrev_b64 v[176:177], 3, v[176:177]
	v_add_co_u32 v172, s0, s4, v172
	v_add_co_ci_u32_e64 v173, s0, s5, v173, s0
	v_add_co_u32 v174, s0, s4, v174
	s_delay_alu instid0(VALU_DEP_1) | instskip(SKIP_1) | instid1(VALU_DEP_1)
	v_add_co_ci_u32_e64 v175, s0, s5, v175, s0
	v_add_co_u32 v176, s0, s4, v176
	v_add_co_ci_u32_e64 v177, s0, s5, v177, s0
	v_dual_sub_f32 v113, v17, v90 :: v_dual_sub_f32 v16, v87, v16
	s_delay_alu instid0(VALU_DEP_1) | instskip(NEXT) | instid1(VALU_DEP_2)
	v_fma_f32 v17, v17, 2.0, -v113
	v_fma_f32 v87, v87, 2.0, -v16
	s_waitcnt vmcnt(22)
	v_mul_f32_e32 v94, v115, v117
	v_fma_f32 v13, v13, 2.0, -v15
	s_waitcnt vmcnt(20)
	v_mul_f32_e32 v96, v119, v121
	s_waitcnt vmcnt(18)
	v_mul_f32_e32 v100, v123, v125
	;; [unrolled: 2-line block ×3, first 2 shown]
	v_fma_f32 v90, v118, v120, -v96
	s_waitcnt vmcnt(14)
	v_mul_f32_e32 v104, v131, v133
	v_mul_f32_e32 v106, v130, v133
	;; [unrolled: 1-line block ×3, first 2 shown]
	s_waitcnt vmcnt(12)
	v_mul_f32_e32 v107, v135, v137
	s_waitcnt vmcnt(10)
	v_dual_mul_f32 v110, v138, v141 :: v_dual_sub_f32 v117, v89, v91
	s_waitcnt vmcnt(8)
	v_mul_f32_e32 v112, v142, v145
	v_mul_f32_e32 v103, v126, v129
	s_delay_alu instid0(VALU_DEP_3)
	v_dual_mul_f32 v101, v122, v125 :: v_dual_fmac_f32 v110, v139, v140
	v_mul_f32_e32 v108, v134, v137
	v_mul_f32_e32 v97, v118, v121
	;; [unrolled: 1-line block ×3, first 2 shown]
	v_add_f32_e32 v121, v92, v15
	v_add_f32_e32 v125, v93, v88
	v_fma_f32 v15, v114, v116, -v94
	v_fma_f32 v94, v122, v124, -v100
	;; [unrolled: 1-line block ×4, first 2 shown]
	v_fmac_f32_e32 v106, v131, v132
	v_dual_fmac_f32 v95, v115, v116 :: v_dual_fmac_f32 v112, v144, v143
	s_waitcnt vmcnt(5)
	v_dual_fmac_f32 v103, v127, v128 :: v_dual_mul_f32 v116, v90, v151
	v_fma_f32 v102, v134, v136, -v107
	s_waitcnt vmcnt(1)
	v_dual_mul_f32 v128, v110, v159 :: v_dual_fmamk_f32 v107, v117, 0x3f3504f3, v113
	v_mul_f32_e32 v109, v139, v141
	v_fma_f32 v88, v105, 2.0, -v92
	v_fma_f32 v91, v181, 2.0, -v91
	v_dual_fmac_f32 v101, v123, v124 :: v_dual_mul_f32 v124, v100, v155
	v_fmac_f32_e32 v108, v135, v136
	v_fmac_f32_e32 v97, v119, v120
	v_fma_f32 v105, v142, v144, -v111
	v_dual_sub_f32 v19, v86, v19 :: v_dual_mul_f32 v120, v103, v153
	v_fma_f32 v89, v89, 2.0, -v117
	v_fma_f32 v92, v92, 2.0, -v121
	;; [unrolled: 1-line block ×3, first 2 shown]
	v_dual_mul_f32 v111, v95, v147 :: v_dual_mul_f32 v122, v96, v153
	s_delay_alu instid0(VALU_DEP_4)
	v_dual_mul_f32 v119, v94, v149 :: v_dual_fmamk_f32 v132, v89, 0xbf3504f3, v17
	v_dual_fmac_f32 v107, 0xbf3504f3, v121 :: v_dual_fmac_f32 v124, v154, v106
	v_fma_f32 v104, v138, v140, -v109
	v_dual_fmamk_f32 v109, v121, 0x3f3504f3, v125 :: v_dual_mul_f32 v114, v15, v147
	v_dual_sub_f32 v91, v88, v91 :: v_dual_mul_f32 v118, v101, v149
	s_waitcnt vmcnt(0)
	v_dual_sub_f32 v13, v14, v13 :: v_dual_mul_f32 v130, v161, v112
	v_dual_mul_f32 v115, v97, v151 :: v_dual_mul_f32 v126, v108, v157
	v_dual_mul_f32 v127, v102, v157 :: v_dual_fmac_f32 v122, v152, v103
	v_fmamk_f32 v133, v92, 0xbf3504f3, v93
	v_fmac_f32_e32 v119, v148, v101
	v_fma_f32 v101, v152, v96, -v120
	v_fma_f32 v96, v113, 2.0, -v107
	v_dual_mul_f32 v129, v104, v159 :: v_dual_fmac_f32 v116, v150, v97
	v_dual_mul_f32 v131, v161, v105 :: v_dual_fmac_f32 v114, v146, v95
	v_fma_f32 v95, v150, v90, -v115
	s_delay_alu instid0(VALU_DEP_4)
	v_dual_fmac_f32 v133, 0x3f3504f3, v89 :: v_dual_mul_f32 v90, v96, v124
	v_add_f32_e32 v121, v19, v13
	v_dual_mul_f32 v123, v106, v155 :: v_dual_fmac_f32 v132, 0xbf3504f3, v92
	v_fma_f32 v13, v14, 2.0, -v13
	v_fma_f32 v14, v86, 2.0, -v19
	v_fma_f32 v86, v88, 2.0, -v91
	v_fma_f32 v94, v148, v94, -v118
	v_fmac_f32_e32 v127, v156, v108
	v_dual_fmac_f32 v129, v158, v110 :: v_dual_mul_f32 v110, v133, v119
	v_dual_fmac_f32 v109, 0x3f3504f3, v117 :: v_dual_mul_f32 v108, v121, v116
	v_sub_f32_e32 v117, v16, v91
	v_fma_f32 v103, v158, v104, -v128
	v_fma_f32 v104, v160, v105, -v130
	;; [unrolled: 1-line block ×3, first 2 shown]
	v_fma_f32 v106, v125, 2.0, -v109
	v_fma_f32 v97, v16, 2.0, -v117
	v_dual_mul_f32 v16, v109, v114 :: v_dual_fmac_f32 v131, v160, v112
	v_sub_f32_e32 v105, v14, v86
	v_mul_f32_e32 v15, v117, v116
	v_fma_f32 v100, v154, v100, -v123
	v_mul_f32_e32 v112, v106, v124
	v_mul_f32_e32 v86, v132, v119
	v_fma_f32 v116, v14, 2.0, -v105
	v_sub_f32_e32 v89, v87, v13
	v_fma_f32 v17, v17, 2.0, -v132
	v_mul_f32_e32 v13, v107, v114
	v_fma_f32 v102, v156, v102, -v126
	v_fma_f32 v19, v19, 2.0, -v121
	v_fma_f32 v115, v87, 2.0, -v89
	;; [unrolled: 1-line block ×3, first 2 shown]
	v_fma_f32 v14, v107, v91, -v16
	v_fma_f32 v87, v132, v94, -v110
	v_fmac_f32_e32 v86, v133, v94
	v_mul_f32_e32 v92, v97, v127
	v_fmac_f32_e32 v13, v109, v91
	v_fma_f32 v91, v96, v100, -v112
	v_mul_f32_e32 v94, v115, v131
	v_mul_f32_e32 v96, v17, v129
	v_fmac_f32_e32 v92, v19, v102
	v_fma_f32 v16, v117, v95, -v108
	v_mul_f32_e32 v107, v116, v131
	v_fmac_f32_e32 v94, v116, v104
	v_dual_mul_f32 v88, v89, v122 :: v_dual_mul_f32 v113, v19, v127
	v_fmac_f32_e32 v96, v114, v103
	v_fmac_f32_e32 v15, v121, v95
	v_mul_f32_e32 v95, v114, v129
	s_delay_alu instid0(VALU_DEP_4) | instskip(SKIP_2) | instid1(VALU_DEP_4)
	v_fmac_f32_e32 v88, v105, v101
	v_dual_mul_f32 v111, v105, v122 :: v_dual_fmac_f32 v90, v106, v100
	v_fma_f32 v93, v97, v102, -v113
	v_fma_f32 v97, v17, v103, -v95
	;; [unrolled: 1-line block ×3, first 2 shown]
	s_delay_alu instid0(VALU_DEP_4)
	v_fma_f32 v89, v89, v101, -v111
	s_clause 0x7
	global_store_b64 v[162:163], v[94:95], off
	global_store_b64 v[164:165], v[96:97], off
	global_store_b64 v[166:167], v[92:93], off
	global_store_b64 v[168:169], v[90:91], off
	global_store_b64 v[170:171], v[88:89], off
	global_store_b64 v[172:173], v[86:87], off
	global_store_b64 v[174:175], v[15:16], off
	global_store_b64 v[176:177], v[13:14], off
.LBB0_34:
	s_or_b32 exec_lo, exec_lo, s2
	v_cmp_gt_u32_e64 s1, 0x60, v0
	v_cmp_lt_u32_e64 s0, 0x5f, v0
	v_cndmask_b32_e64 v13, 0, 1, vcc_lo
	s_delay_alu instid0(VALU_DEP_3) | instskip(NEXT) | instid1(VALU_DEP_3)
	v_cndmask_b32_e64 v0, 0, 1, s1
	s_or_b32 vcc_lo, s0, s9
	s_mov_b32 s0, exec_lo
	s_delay_alu instid0(VALU_DEP_1) | instskip(NEXT) | instid1(VALU_DEP_1)
	v_cndmask_b32_e32 v0, v13, v0, vcc_lo
	v_and_b32_e32 v0, 1, v0
	s_delay_alu instid0(VALU_DEP_1)
	v_cmpx_eq_u32_e32 1, v0
	s_cbranch_execz .LBB0_36
; %bb.35:
	s_waitcnt vmcnt(24)
	v_dual_mul_f32 v0, v39, v10 :: v_dual_mul_f32 v13, v33, v12
	v_mul_f32_e32 v10, v38, v10
	s_delay_alu instid0(VALU_DEP_2) | instskip(SKIP_1) | instid1(VALU_DEP_3)
	v_dual_fmac_f32 v0, v38, v9 :: v_dual_fmac_f32 v13, v32, v11
	v_mul_f32_e32 v12, v32, v12
	v_fma_f32 v9, v39, v9, -v10
	s_delay_alu instid0(VALU_DEP_2) | instskip(SKIP_4) | instid1(VALU_DEP_4)
	v_fma_f32 v10, v33, v11, -v12
	v_mul_f32_e32 v12, v65, v2
	v_dual_mul_f32 v2, v64, v2 :: v_dual_mul_f32 v11, v61, v8
	v_mul_f32_e32 v14, v25, v6
	v_mul_f32_e32 v6, v24, v6
	v_fmac_f32_e32 v12, v64, v1
	s_delay_alu instid0(VALU_DEP_4)
	v_fma_f32 v1, v65, v1, -v2
	v_mul_f32_e32 v8, v60, v8
	v_fmac_f32_e32 v11, v60, v7
	v_fmac_f32_e32 v14, v24, v5
	v_fma_f32 v5, v25, v5, -v6
	v_sub_f32_e32 v1, v9, v1
	v_fma_f32 v6, v61, v7, -v8
	v_mul_f32_e32 v7, v49, v4
	v_sub_f32_e32 v11, v20, v11
	s_waitcnt vmcnt(16)
	v_mul_f32_e32 v24, v45, v47
	v_fma_f32 v9, v9, 2.0, -v1
	v_mul_f32_e32 v2, v48, v4
	v_dual_fmac_f32 v7, v48, v3 :: v_dual_mul_f32 v4, v57, v85
	s_delay_alu instid0(VALU_DEP_2) | instskip(NEXT) | instid1(VALU_DEP_2)
	v_fma_f32 v2, v49, v3, -v2
	v_sub_f32_e32 v7, v13, v7
	s_delay_alu instid0(VALU_DEP_1) | instskip(SKIP_1) | instid1(VALU_DEP_1)
	v_fma_f32 v13, v13, 2.0, -v7
	v_sub_f32_e32 v6, v21, v6
	v_sub_f32_e32 v7, v6, v7
	v_fma_f32 v15, v21, 2.0, -v6
	s_delay_alu instid0(VALU_DEP_2) | instskip(SKIP_1) | instid1(VALU_DEP_1)
	v_fma_f32 v6, v6, 2.0, -v7
	v_mul_f32_e32 v8, v56, v85
	v_fma_f32 v3, v57, v84, -v8
	v_fma_f32 v8, v20, 2.0, -v11
	s_delay_alu instid0(VALU_DEP_2) | instskip(NEXT) | instid1(VALU_DEP_2)
	v_sub_f32_e32 v3, v5, v3
	v_sub_f32_e32 v13, v8, v13
	s_delay_alu instid0(VALU_DEP_2) | instskip(NEXT) | instid1(VALU_DEP_2)
	v_fma_f32 v5, v5, 2.0, -v3
	v_fma_f32 v8, v8, 2.0, -v13
	s_delay_alu instid0(VALU_DEP_2) | instskip(SKIP_1) | instid1(VALU_DEP_2)
	v_dual_sub_f32 v5, v9, v5 :: v_dual_sub_f32 v12, v0, v12
	v_sub_f32_e32 v2, v10, v2
	v_fma_f32 v9, v9, 2.0, -v5
	s_delay_alu instid0(VALU_DEP_3) | instskip(NEXT) | instid1(VALU_DEP_3)
	v_add_f32_e32 v3, v12, v3
	v_fma_f32 v10, v10, 2.0, -v2
	v_fma_f32 v0, v0, 2.0, -v12
	s_delay_alu instid0(VALU_DEP_3) | instskip(NEXT) | instid1(VALU_DEP_3)
	v_fma_f32 v12, v12, 2.0, -v3
	v_sub_f32_e32 v10, v15, v10
	v_add_f32_e32 v2, v11, v2
	s_delay_alu instid0(VALU_DEP_2) | instskip(SKIP_1) | instid1(VALU_DEP_3)
	v_fma_f32 v15, v15, 2.0, -v10
	v_fmac_f32_e32 v4, v56, v84
	v_fmamk_f32 v21, v3, 0x3f3504f3, v2
	s_delay_alu instid0(VALU_DEP_2) | instskip(NEXT) | instid1(VALU_DEP_1)
	v_dual_sub_f32 v9, v15, v9 :: v_dual_sub_f32 v4, v14, v4
	v_fma_f32 v14, v14, 2.0, -v4
	v_sub_f32_e32 v4, v1, v4
	s_delay_alu instid0(VALU_DEP_1) | instskip(NEXT) | instid1(VALU_DEP_1)
	v_fma_f32 v1, v1, 2.0, -v4
	v_fmamk_f32 v19, v1, 0xbf3504f3, v6
	s_delay_alu instid0(VALU_DEP_1) | instskip(SKIP_1) | instid1(VALU_DEP_2)
	v_fmac_f32_e32 v19, 0xbf3504f3, v12
	v_fma_f32 v11, v11, 2.0, -v2
	v_fma_f32 v6, v6, 2.0, -v19
	s_delay_alu instid0(VALU_DEP_2) | instskip(SKIP_1) | instid1(VALU_DEP_1)
	v_fmamk_f32 v16, v12, 0xbf3504f3, v11
	v_mul_f32_e32 v12, v80, v83
	v_dual_fmamk_f32 v25, v4, 0x3f3504f3, v7 :: v_dual_fmac_f32 v12, v81, v82
	s_delay_alu instid0(VALU_DEP_1) | instskip(SKIP_2) | instid1(VALU_DEP_3)
	v_dual_sub_f32 v14, v0, v14 :: v_dual_fmac_f32 v25, 0xbf3504f3, v3
	v_mul_f32_e32 v3, v75, v77
	v_fmac_f32_e32 v16, 0x3f3504f3, v1
	v_fma_f32 v0, v0, 2.0, -v14
	s_delay_alu instid0(VALU_DEP_4) | instskip(NEXT) | instid1(VALU_DEP_4)
	v_fma_f32 v7, v7, 2.0, -v25
	v_fma_f32 v3, v74, v76, -v3
	s_delay_alu instid0(VALU_DEP_3) | instskip(NEXT) | instid1(VALU_DEP_1)
	v_dual_sub_f32 v17, v8, v0 :: v_dual_mul_f32 v0, v81, v83
	v_fma_f32 v1, v8, 2.0, -v17
	v_fma_f32 v8, v15, 2.0, -v9
	v_add_f32_e32 v15, v13, v5
	s_delay_alu instid0(VALU_DEP_4) | instskip(SKIP_1) | instid1(VALU_DEP_3)
	v_fma_f32 v0, v80, v82, -v0
	v_fma_f32 v5, v11, 2.0, -v16
	v_fma_f32 v11, v13, 2.0, -v15
	s_delay_alu instid0(VALU_DEP_3) | instskip(SKIP_1) | instid1(VALU_DEP_2)
	v_mul_f32_e32 v13, v0, v79
	v_dual_fmac_f32 v21, 0x3f3504f3, v4 :: v_dual_mul_f32 v4, v12, v79
	v_fmac_f32_e32 v13, v78, v12
	v_sub_f32_e32 v20, v10, v14
	s_delay_alu instid0(VALU_DEP_3) | instskip(NEXT) | instid1(VALU_DEP_4)
	v_fma_f32 v4, v78, v0, -v4
	v_fma_f32 v12, v2, 2.0, -v21
	v_mul_f32_e32 v2, v74, v77
	v_mul_f32_e32 v0, v8, v13
	v_dual_mul_f32 v13, v1, v13 :: v_dual_mul_f32 v14, v3, v71
	v_fma_f32 v10, v10, 2.0, -v20
	s_delay_alu instid0(VALU_DEP_3) | instskip(NEXT) | instid1(VALU_DEP_3)
	v_fmac_f32_e32 v0, v1, v4
	v_fma_f32 v1, v8, v4, -v13
	v_mul_f32_e32 v4, v44, v47
	v_fma_f32 v8, v44, v46, -v24
	s_waitcnt vmcnt(13)
	s_delay_alu instid0(VALU_DEP_2) | instskip(SKIP_1) | instid1(VALU_DEP_3)
	v_dual_mul_f32 v13, v67, v69 :: v_dual_fmac_f32 v4, v45, v46
	v_fmac_f32_e32 v2, v75, v76
	v_mul_f32_e32 v24, v8, v53
	s_delay_alu instid0(VALU_DEP_3) | instskip(NEXT) | instid1(VALU_DEP_3)
	v_fma_f32 v13, v66, v68, -v13
	v_dual_mul_f32 v33, v4, v53 :: v_dual_mul_f32 v32, v2, v71
	v_fmac_f32_e32 v14, v70, v2
	s_delay_alu instid0(VALU_DEP_4) | instskip(NEXT) | instid1(VALU_DEP_3)
	v_fmac_f32_e32 v24, v52, v4
	v_fma_f32 v8, v52, v8, -v33
	s_delay_alu instid0(VALU_DEP_4) | instskip(SKIP_3) | instid1(VALU_DEP_3)
	v_fma_f32 v3, v70, v3, -v32
	v_mul_f32_e32 v32, v66, v69
	v_mul_f32_e32 v2, v6, v14
	;; [unrolled: 1-line block ×3, first 2 shown]
	v_fmac_f32_e32 v32, v67, v68
	s_delay_alu instid0(VALU_DEP_3) | instskip(SKIP_4) | instid1(VALU_DEP_3)
	v_fmac_f32_e32 v2, v5, v3
	v_mul_f32_e32 v5, v5, v14
	s_waitcnt vmcnt(12)
	v_mul_f32_e32 v14, v13, v43
	v_dual_fmac_f32 v4, v11, v8 :: v_dual_mul_f32 v33, v32, v43
	v_fma_f32 v3, v6, v3, -v5
	v_mul_f32_e32 v5, v11, v24
	s_delay_alu instid0(VALU_DEP_4) | instskip(NEXT) | instid1(VALU_DEP_4)
	v_fmac_f32_e32 v14, v42, v32
	v_fma_f32 v11, v42, v13, -v33
	s_waitcnt vmcnt(7)
	v_dual_mul_f32 v13, v55, v59 :: v_dual_mul_f32 v24, v50, v73
	v_fma_f32 v5, v10, v8, -v5
	v_mul_f32_e32 v8, v54, v59
	v_mul_f32_e32 v10, v51, v73
	s_delay_alu instid0(VALU_DEP_4)
	v_fma_f32 v13, v54, v58, -v13
	v_mul_f32_e32 v6, v7, v14
	v_fmac_f32_e32 v24, v51, v72
	v_fmac_f32_e32 v8, v55, v58
	v_fma_f32 v10, v50, v72, -v10
	v_mul_f32_e32 v32, v13, v41
	v_fmac_f32_e32 v6, v12, v11
	v_mul_f32_e32 v12, v12, v14
	s_waitcnt vmcnt(6)
	v_dual_mul_f32 v14, v8, v41 :: v_dual_mul_f32 v33, v10, v63
	v_fmac_f32_e32 v32, v40, v8
	s_delay_alu instid0(VALU_DEP_3) | instskip(NEXT) | instid1(VALU_DEP_3)
	v_fma_f32 v7, v7, v11, -v12
	v_fma_f32 v12, v40, v13, -v14
	s_delay_alu instid0(VALU_DEP_3) | instskip(SKIP_3) | instid1(VALU_DEP_3)
	v_dual_mul_f32 v11, v24, v63 :: v_dual_mul_f32 v8, v9, v32
	v_fmac_f32_e32 v33, v62, v24
	s_waitcnt vmcnt(4)
	v_dual_mul_f32 v13, v17, v32 :: v_dual_mul_f32 v14, v35, v37
	v_fma_f32 v11, v62, v10, -v11
	v_dual_fmac_f32 v8, v17, v12 :: v_dual_mul_f32 v17, v34, v37
	v_mul_f32_e32 v10, v19, v33
	s_delay_alu instid0(VALU_DEP_4)
	v_fma_f32 v9, v9, v12, -v13
	v_fma_f32 v12, v34, v36, -v14
	s_waitcnt vmcnt(1)
	v_mul_f32_e32 v13, v29, v31
	v_dual_fmac_f32 v17, v35, v36 :: v_dual_mul_f32 v14, v16, v33
	v_mul_f32_e32 v24, v28, v31
	v_fmac_f32_e32 v10, v16, v11
	v_mul_f32_e32 v16, v12, v27
	v_fma_f32 v13, v28, v30, -v13
	v_mul_f32_e32 v27, v17, v27
	v_fma_f32 v11, v19, v11, -v14
	v_fmac_f32_e32 v24, v29, v30
	v_and_b32_e32 v14, 0xffff, v99
	s_waitcnt vmcnt(0)
	v_dual_fmac_f32 v16, v26, v17 :: v_dual_mul_f32 v17, v13, v23
	v_fma_f32 v19, v26, v12, -v27
	v_mul_f32_e32 v23, v24, v23
	v_mad_u32_u24 v27, 0x54, v14, v98
	s_delay_alu instid0(VALU_DEP_4)
	v_mul_f32_e32 v12, v20, v16
	v_mul_f32_e32 v16, v15, v16
	v_fmac_f32_e32 v17, v22, v24
	v_fma_f32 v26, v22, v13, -v23
	v_add_nc_u32_e32 v22, 12, v27
	v_fmac_f32_e32 v12, v15, v19
	v_fma_f32 v13, v20, v19, -v16
	v_mad_u64_u32 v[15:16], null, s8, v27, v[18:19]
	v_mov_b32_e32 v16, 0
	v_mul_f32_e32 v14, v25, v17
	v_mad_u64_u32 v[19:20], null, s8, v22, v[18:19]
	v_add_nc_u32_e32 v28, 24, v27
	s_delay_alu instid0(VALU_DEP_4) | instskip(NEXT) | instid1(VALU_DEP_4)
	v_mov_b32_e32 v20, v16
	v_fmac_f32_e32 v14, v21, v26
	v_mul_f32_e32 v17, v21, v17
	v_lshlrev_b64 v[21:22], 3, v[15:16]
	v_mad_u64_u32 v[23:24], null, s8, v28, v[18:19]
	v_lshlrev_b64 v[19:20], 3, v[19:20]
	v_mov_b32_e32 v24, v16
	s_delay_alu instid0(VALU_DEP_4) | instskip(SKIP_1) | instid1(VALU_DEP_4)
	v_add_co_u32 v21, vcc_lo, s4, v21
	v_add_co_ci_u32_e32 v22, vcc_lo, s5, v22, vcc_lo
	v_add_co_u32 v19, vcc_lo, s4, v19
	v_fma_f32 v15, v25, v26, -v17
	v_add_nc_u32_e32 v17, 36, v27
	v_add_co_ci_u32_e32 v20, vcc_lo, s5, v20, vcc_lo
	v_lshlrev_b64 v[23:24], 3, v[23:24]
	s_clause 0x1
	global_store_b64 v[21:22], v[0:1], off
	global_store_b64 v[19:20], v[2:3], off
	v_mad_u64_u32 v[25:26], null, s8, v17, v[18:19]
	v_add_nc_u32_e32 v17, 48, v27
	v_add_nc_u32_e32 v19, 60, v27
	v_add_co_u32 v23, vcc_lo, s4, v23
	v_add_co_ci_u32_e32 v24, vcc_lo, s5, v24, vcc_lo
	s_delay_alu instid0(VALU_DEP_3)
	v_mad_u64_u32 v[2:3], null, s8, v17, v[18:19]
	v_dual_mov_b32 v26, v16 :: v_dual_add_nc_u32 v17, 0x48, v27
	global_store_b64 v[23:24], v[4:5], off
	v_mad_u64_u32 v[4:5], null, s8, v19, v[18:19]
	v_mad_u64_u32 v[19:20], null, s8, v17, v[18:19]
	v_mov_b32_e32 v3, v16
	v_add_nc_u32_e32 v23, 0x54, v27
	v_lshlrev_b64 v[0:1], 3, v[25:26]
	v_mov_b32_e32 v5, v16
	v_mov_b32_e32 v20, v16
	v_lshlrev_b64 v[2:3], 3, v[2:3]
	v_mad_u64_u32 v[21:22], null, s8, v23, v[18:19]
	v_add_co_u32 v0, vcc_lo, s4, v0
	v_lshlrev_b64 v[4:5], 3, v[4:5]
	v_mov_b32_e32 v22, v16
	v_add_co_ci_u32_e32 v1, vcc_lo, s5, v1, vcc_lo
	v_add_co_u32 v2, vcc_lo, s4, v2
	v_lshlrev_b64 v[17:18], 3, v[19:20]
	v_add_co_ci_u32_e32 v3, vcc_lo, s5, v3, vcc_lo
	v_add_co_u32 v4, vcc_lo, s4, v4
	v_lshlrev_b64 v[19:20], 3, v[21:22]
	v_add_co_ci_u32_e32 v5, vcc_lo, s5, v5, vcc_lo
	v_add_co_u32 v16, vcc_lo, s4, v17
	v_add_co_ci_u32_e32 v17, vcc_lo, s5, v18, vcc_lo
	s_delay_alu instid0(VALU_DEP_4)
	v_add_co_u32 v18, vcc_lo, s4, v19
	v_add_co_ci_u32_e32 v19, vcc_lo, s5, v20, vcc_lo
	s_clause 0x4
	global_store_b64 v[0:1], v[6:7], off
	global_store_b64 v[2:3], v[8:9], off
	;; [unrolled: 1-line block ×5, first 2 shown]
.LBB0_36:
	s_nop 0
	s_sendmsg sendmsg(MSG_DEALLOC_VGPRS)
	s_endpgm
	.section	.rodata,"a",@progbits
	.p2align	6, 0x0
	.amdhsa_kernel fft_rtc_back_len96_factors_3_4_8_wgs_192_tpt_8_dim3_sp_ip_CI_sbcc_twdbase8_3step_dirReg_intrinsicReadWrite
		.amdhsa_group_segment_fixed_size 0
		.amdhsa_private_segment_fixed_size 0
		.amdhsa_kernarg_size 88
		.amdhsa_user_sgpr_count 15
		.amdhsa_user_sgpr_dispatch_ptr 0
		.amdhsa_user_sgpr_queue_ptr 0
		.amdhsa_user_sgpr_kernarg_segment_ptr 1
		.amdhsa_user_sgpr_dispatch_id 0
		.amdhsa_user_sgpr_private_segment_size 0
		.amdhsa_wavefront_size32 1
		.amdhsa_uses_dynamic_stack 0
		.amdhsa_enable_private_segment 0
		.amdhsa_system_sgpr_workgroup_id_x 1
		.amdhsa_system_sgpr_workgroup_id_y 0
		.amdhsa_system_sgpr_workgroup_id_z 0
		.amdhsa_system_sgpr_workgroup_info 0
		.amdhsa_system_vgpr_workitem_id 0
		.amdhsa_next_free_vgpr 183
		.amdhsa_next_free_sgpr 26
		.amdhsa_reserve_vcc 1
		.amdhsa_float_round_mode_32 0
		.amdhsa_float_round_mode_16_64 0
		.amdhsa_float_denorm_mode_32 3
		.amdhsa_float_denorm_mode_16_64 3
		.amdhsa_dx10_clamp 1
		.amdhsa_ieee_mode 1
		.amdhsa_fp16_overflow 0
		.amdhsa_workgroup_processor_mode 1
		.amdhsa_memory_ordered 1
		.amdhsa_forward_progress 0
		.amdhsa_shared_vgpr_count 0
		.amdhsa_exception_fp_ieee_invalid_op 0
		.amdhsa_exception_fp_denorm_src 0
		.amdhsa_exception_fp_ieee_div_zero 0
		.amdhsa_exception_fp_ieee_overflow 0
		.amdhsa_exception_fp_ieee_underflow 0
		.amdhsa_exception_fp_ieee_inexact 0
		.amdhsa_exception_int_div_zero 0
	.end_amdhsa_kernel
	.text
.Lfunc_end0:
	.size	fft_rtc_back_len96_factors_3_4_8_wgs_192_tpt_8_dim3_sp_ip_CI_sbcc_twdbase8_3step_dirReg_intrinsicReadWrite, .Lfunc_end0-fft_rtc_back_len96_factors_3_4_8_wgs_192_tpt_8_dim3_sp_ip_CI_sbcc_twdbase8_3step_dirReg_intrinsicReadWrite
                                        ; -- End function
	.section	.AMDGPU.csdata,"",@progbits
; Kernel info:
; codeLenInByte = 8268
; NumSgprs: 28
; NumVgprs: 183
; ScratchSize: 0
; MemoryBound: 0
; FloatMode: 240
; IeeeMode: 1
; LDSByteSize: 0 bytes/workgroup (compile time only)
; SGPRBlocks: 3
; VGPRBlocks: 22
; NumSGPRsForWavesPerEU: 28
; NumVGPRsForWavesPerEU: 183
; Occupancy: 8
; WaveLimiterHint : 1
; COMPUTE_PGM_RSRC2:SCRATCH_EN: 0
; COMPUTE_PGM_RSRC2:USER_SGPR: 15
; COMPUTE_PGM_RSRC2:TRAP_HANDLER: 0
; COMPUTE_PGM_RSRC2:TGID_X_EN: 1
; COMPUTE_PGM_RSRC2:TGID_Y_EN: 0
; COMPUTE_PGM_RSRC2:TGID_Z_EN: 0
; COMPUTE_PGM_RSRC2:TIDIG_COMP_CNT: 0
	.text
	.p2alignl 7, 3214868480
	.fill 96, 4, 3214868480
	.type	__hip_cuid_4bee4b7e73553a6,@object ; @__hip_cuid_4bee4b7e73553a6
	.section	.bss,"aw",@nobits
	.globl	__hip_cuid_4bee4b7e73553a6
__hip_cuid_4bee4b7e73553a6:
	.byte	0                               ; 0x0
	.size	__hip_cuid_4bee4b7e73553a6, 1

	.ident	"AMD clang version 19.0.0git (https://github.com/RadeonOpenCompute/llvm-project roc-6.4.0 25133 c7fe45cf4b819c5991fe208aaa96edf142730f1d)"
	.section	".note.GNU-stack","",@progbits
	.addrsig
	.addrsig_sym __hip_cuid_4bee4b7e73553a6
	.amdgpu_metadata
---
amdhsa.kernels:
  - .args:
      - .actual_access:  read_only
        .address_space:  global
        .offset:         0
        .size:           8
        .value_kind:     global_buffer
      - .address_space:  global
        .offset:         8
        .size:           8
        .value_kind:     global_buffer
      - .actual_access:  read_only
        .address_space:  global
        .offset:         16
        .size:           8
        .value_kind:     global_buffer
      - .actual_access:  read_only
        .address_space:  global
        .offset:         24
        .size:           8
        .value_kind:     global_buffer
      - .offset:         32
        .size:           8
        .value_kind:     by_value
      - .actual_access:  read_only
        .address_space:  global
        .offset:         40
        .size:           8
        .value_kind:     global_buffer
      - .actual_access:  read_only
        .address_space:  global
        .offset:         48
        .size:           8
        .value_kind:     global_buffer
      - .offset:         56
        .size:           4
        .value_kind:     by_value
      - .actual_access:  read_only
        .address_space:  global
        .offset:         64
        .size:           8
        .value_kind:     global_buffer
      - .actual_access:  read_only
        .address_space:  global
        .offset:         72
        .size:           8
        .value_kind:     global_buffer
      - .address_space:  global
        .offset:         80
        .size:           8
        .value_kind:     global_buffer
    .group_segment_fixed_size: 0
    .kernarg_segment_align: 8
    .kernarg_segment_size: 88
    .language:       OpenCL C
    .language_version:
      - 2
      - 0
    .max_flat_workgroup_size: 192
    .name:           fft_rtc_back_len96_factors_3_4_8_wgs_192_tpt_8_dim3_sp_ip_CI_sbcc_twdbase8_3step_dirReg_intrinsicReadWrite
    .private_segment_fixed_size: 0
    .sgpr_count:     28
    .sgpr_spill_count: 0
    .symbol:         fft_rtc_back_len96_factors_3_4_8_wgs_192_tpt_8_dim3_sp_ip_CI_sbcc_twdbase8_3step_dirReg_intrinsicReadWrite.kd
    .uniform_work_group_size: 1
    .uses_dynamic_stack: false
    .vgpr_count:     183
    .vgpr_spill_count: 0
    .wavefront_size: 32
    .workgroup_processor_mode: 1
amdhsa.target:   amdgcn-amd-amdhsa--gfx1100
amdhsa.version:
  - 1
  - 2
...

	.end_amdgpu_metadata
